;; amdgpu-corpus repo=ROCm/rocFFT kind=compiled arch=gfx1201 opt=O3
	.text
	.amdgcn_target "amdgcn-amd-amdhsa--gfx1201"
	.amdhsa_code_object_version 6
	.protected	fft_rtc_fwd_len168_factors_7_8_3_wgs_252_tpt_21_halfLds_dim3_dp_ip_CI_sbcc_twdbase6_3step_dirReg_intrinsicReadWrite ; -- Begin function fft_rtc_fwd_len168_factors_7_8_3_wgs_252_tpt_21_halfLds_dim3_dp_ip_CI_sbcc_twdbase6_3step_dirReg_intrinsicReadWrite
	.globl	fft_rtc_fwd_len168_factors_7_8_3_wgs_252_tpt_21_halfLds_dim3_dp_ip_CI_sbcc_twdbase6_3step_dirReg_intrinsicReadWrite
	.p2align	8
	.type	fft_rtc_fwd_len168_factors_7_8_3_wgs_252_tpt_21_halfLds_dim3_dp_ip_CI_sbcc_twdbase6_3step_dirReg_intrinsicReadWrite,@function
fft_rtc_fwd_len168_factors_7_8_3_wgs_252_tpt_21_halfLds_dim3_dp_ip_CI_sbcc_twdbase6_3step_dirReg_intrinsicReadWrite: ; @fft_rtc_fwd_len168_factors_7_8_3_wgs_252_tpt_21_halfLds_dim3_dp_ip_CI_sbcc_twdbase6_3step_dirReg_intrinsicReadWrite
; %bb.0:
	s_load_b128 s[4:7], s[0:1], 0x10
	s_mov_b32 s2, ttmp9
	s_mov_b32 s3, exec_lo
	v_cmpx_gt_u32_e32 0xc0, v0
	s_cbranch_execz .LBB0_2
; %bb.1:
	s_load_b64 s[8:9], s[0:1], 0x8
	v_lshlrev_b32_e32 v5, 4, v0
	s_wait_kmcnt 0x0
	global_load_b128 v[1:4], v5, s[8:9]
	v_add3_u32 v5, 0, v5, 0x3f00
	s_wait_loadcnt 0x0
	ds_store_2addr_b64 v5, v[1:2], v[3:4] offset1:1
.LBB0_2:
	s_or_b32 exec_lo, exec_lo, s3
	s_mov_b32 s3, 0
	s_mov_b32 s8, 0x55540000
	s_movk_i32 s9, 0x55
	s_mov_b32 s10, s3
	s_mov_b32 s11, s3
	s_mov_b32 s17, s3
	s_add_nc_u64 s[8:9], s[10:11], s[8:9]
	s_wait_kmcnt 0x0
	s_load_b64 s[10:11], s[4:5], 0x8
	s_add_co_i32 s9, s9, 0x15555500
	s_delay_alu instid0(SALU_CYCLE_1) | instskip(NEXT) | instid1(SALU_CYCLE_1)
	s_mul_u64 s[12:13], s[8:9], -12
	s_mul_hi_u32 s15, s8, s13
	s_mul_i32 s14, s8, s13
	s_mul_hi_u32 s16, s8, s12
	s_mul_hi_u32 s18, s9, s12
	s_mul_i32 s12, s9, s12
	s_add_nc_u64 s[14:15], s[16:17], s[14:15]
	s_mul_hi_u32 s16, s9, s13
	s_add_co_u32 s12, s14, s12
	s_add_co_ci_u32 s12, s15, s18
	s_add_co_ci_u32 s15, s16, 0
	s_mul_i32 s14, s9, s13
	s_mov_b32 s13, s3
	s_delay_alu instid0(SALU_CYCLE_1) | instskip(NEXT) | instid1(SALU_CYCLE_1)
	s_add_nc_u64 s[12:13], s[12:13], s[14:15]
	v_add_co_u32 v1, s8, s8, s12
	s_delay_alu instid0(VALU_DEP_1)
	s_cmp_lg_u32 s8, 0
	s_wait_kmcnt 0x0
	s_add_nc_u64 s[14:15], s[10:11], -1
	s_add_co_ci_u32 s17, s9, s13
	v_readfirstlane_b32 s16, v1
	s_mul_hi_u32 s9, s14, s17
	s_mul_i32 s8, s14, s17
	s_mov_b32 s13, s3
	s_delay_alu instid0(VALU_DEP_1)
	s_mul_hi_u32 s12, s14, s16
	s_wait_alu 0xfffe
	s_add_nc_u64 s[8:9], s[12:13], s[8:9]
	s_mul_i32 s13, s15, s16
	s_mul_hi_u32 s16, s15, s16
	s_mul_hi_u32 s12, s15, s17
	s_wait_alu 0xfffe
	s_add_co_u32 s8, s8, s13
	s_add_co_ci_u32 s8, s9, s16
	s_add_co_ci_u32 s13, s12, 0
	s_mul_i32 s12, s15, s17
	s_mov_b32 s9, s3
	s_wait_alu 0xfffe
	s_add_nc_u64 s[8:9], s[8:9], s[12:13]
	s_wait_alu 0xfffe
	s_mul_u64 s[12:13], s[8:9], 12
	s_wait_alu 0xfffe
	v_sub_co_u32 v1, s12, s14, s12
	s_delay_alu instid0(VALU_DEP_1) | instskip(SKIP_1) | instid1(VALU_DEP_1)
	s_cmp_lg_u32 s12, 0
	s_sub_co_ci_u32 s16, s15, s13
	v_sub_co_u32 v2, s14, v1, 12
	s_delay_alu instid0(VALU_DEP_1) | instskip(SKIP_2) | instid1(VALU_DEP_2)
	s_cmp_lg_u32 s14, 0
	v_readfirstlane_b32 s18, v1
	s_sub_co_ci_u32 s14, s16, 0
	v_readfirstlane_b32 s12, v2
	s_delay_alu instid0(VALU_DEP_1)
	s_cmp_gt_u32 s12, 11
	s_add_nc_u64 s[12:13], s[8:9], 1
	s_cselect_b32 s17, -1, 0
	s_wait_alu 0xfffe
	s_cmp_eq_u32 s14, 0
	s_add_nc_u64 s[14:15], s[8:9], 2
	s_cselect_b32 s17, s17, -1
	s_delay_alu instid0(SALU_CYCLE_1)
	s_cmp_lg_u32 s17, 0
	s_wait_alu 0xfffe
	s_cselect_b32 s12, s14, s12
	s_cselect_b32 s13, s15, s13
	s_cmp_gt_u32 s18, 11
	s_cselect_b32 s14, -1, 0
	s_cmp_eq_u32 s16, 0
	s_mov_b64 s[16:17], 0
	s_wait_alu 0xfffe
	s_cselect_b32 s14, s14, -1
	s_wait_alu 0xfffe
	s_cmp_lg_u32 s14, 0
	s_cselect_b32 s9, s13, s9
	s_cselect_b32 s8, s12, s8
	s_wait_alu 0xfffe
	s_add_nc_u64 s[12:13], s[8:9], 1
	s_wait_alu 0xfffe
	v_cmp_lt_u64_e64 s8, s[2:3], s[12:13]
	s_delay_alu instid0(VALU_DEP_1)
	s_and_b32 vcc_lo, exec_lo, s8
	s_cbranch_vccnz .LBB0_4
; %bb.3:
	v_cvt_f32_u32_e32 v1, s12
	s_sub_co_i32 s9, 0, s12
	s_mov_b32 s17, s3
	s_delay_alu instid0(VALU_DEP_1) | instskip(NEXT) | instid1(TRANS32_DEP_1)
	v_rcp_iflag_f32_e32 v1, v1
	v_mul_f32_e32 v1, 0x4f7ffffe, v1
	s_delay_alu instid0(VALU_DEP_1) | instskip(NEXT) | instid1(VALU_DEP_1)
	v_cvt_u32_f32_e32 v1, v1
	v_readfirstlane_b32 s8, v1
	s_wait_alu 0xfffe
	s_delay_alu instid0(VALU_DEP_1)
	s_mul_i32 s9, s9, s8
	s_wait_alu 0xfffe
	s_mul_hi_u32 s9, s8, s9
	s_wait_alu 0xfffe
	s_add_co_i32 s8, s8, s9
	s_wait_alu 0xfffe
	s_mul_hi_u32 s8, s2, s8
	s_wait_alu 0xfffe
	s_mul_i32 s9, s8, s12
	s_add_co_i32 s14, s8, 1
	s_wait_alu 0xfffe
	s_sub_co_i32 s9, s2, s9
	s_wait_alu 0xfffe
	s_sub_co_i32 s15, s9, s12
	s_cmp_ge_u32 s9, s12
	s_cselect_b32 s8, s14, s8
	s_wait_alu 0xfffe
	s_cselect_b32 s9, s15, s9
	s_add_co_i32 s14, s8, 1
	s_wait_alu 0xfffe
	s_cmp_ge_u32 s9, s12
	s_cselect_b32 s16, s14, s8
.LBB0_4:
	s_load_b64 s[22:23], s[4:5], 0x10
	s_load_b64 s[14:15], s[6:7], 0x8
	s_mov_b64 s[18:19], s[16:17]
	s_wait_kmcnt 0x0
	v_cmp_lt_u64_e64 s4, s[16:17], s[22:23]
	s_delay_alu instid0(VALU_DEP_1)
	s_and_b32 vcc_lo, exec_lo, s4
	s_cbranch_vccnz .LBB0_6
; %bb.5:
	v_cvt_f32_u32_e32 v1, s22
	s_sub_co_i32 s5, 0, s22
	s_mov_b32 s19, 0
	s_delay_alu instid0(VALU_DEP_1) | instskip(NEXT) | instid1(TRANS32_DEP_1)
	v_rcp_iflag_f32_e32 v1, v1
	v_mul_f32_e32 v1, 0x4f7ffffe, v1
	s_delay_alu instid0(VALU_DEP_1) | instskip(NEXT) | instid1(VALU_DEP_1)
	v_cvt_u32_f32_e32 v1, v1
	v_readfirstlane_b32 s4, v1
	s_delay_alu instid0(VALU_DEP_1) | instskip(NEXT) | instid1(SALU_CYCLE_1)
	s_mul_i32 s5, s5, s4
	s_mul_hi_u32 s5, s4, s5
	s_delay_alu instid0(SALU_CYCLE_1) | instskip(NEXT) | instid1(SALU_CYCLE_1)
	s_add_co_i32 s4, s4, s5
	s_mul_hi_u32 s4, s16, s4
	s_delay_alu instid0(SALU_CYCLE_1) | instskip(NEXT) | instid1(SALU_CYCLE_1)
	s_mul_i32 s4, s4, s22
	s_sub_co_i32 s4, s16, s4
	s_delay_alu instid0(SALU_CYCLE_1) | instskip(SKIP_2) | instid1(SALU_CYCLE_1)
	s_sub_co_i32 s5, s4, s22
	s_cmp_ge_u32 s4, s22
	s_cselect_b32 s4, s5, s4
	s_sub_co_i32 s5, s4, s22
	s_cmp_ge_u32 s4, s22
	s_cselect_b32 s18, s5, s4
.LBB0_6:
	s_load_b64 s[4:5], s[0:1], 0x50
	s_clause 0x1
	s_load_b64 s[8:9], s[6:7], 0x0
	s_load_b64 s[20:21], s[6:7], 0x10
	s_mul_u64 s[24:25], s[22:23], s[12:13]
	s_mov_b64 s[22:23], 0
	s_wait_kmcnt 0x0
	v_cmp_lt_u64_e64 s9, s[2:3], s[24:25]
	s_delay_alu instid0(VALU_DEP_1)
	s_and_b32 vcc_lo, exec_lo, s9
	s_cbranch_vccnz .LBB0_8
; %bb.7:
	v_cvt_f32_u32_e32 v1, s24
	s_sub_co_i32 s22, 0, s24
	s_delay_alu instid0(VALU_DEP_1) | instskip(NEXT) | instid1(TRANS32_DEP_1)
	v_rcp_iflag_f32_e32 v1, v1
	v_mul_f32_e32 v1, 0x4f7ffffe, v1
	s_delay_alu instid0(VALU_DEP_1) | instskip(NEXT) | instid1(VALU_DEP_1)
	v_cvt_u32_f32_e32 v1, v1
	v_readfirstlane_b32 s9, v1
	s_wait_alu 0xfffe
	s_delay_alu instid0(VALU_DEP_1)
	s_mul_i32 s22, s22, s9
	s_wait_alu 0xfffe
	s_mul_hi_u32 s22, s9, s22
	s_wait_alu 0xfffe
	s_add_co_i32 s9, s9, s22
	s_wait_alu 0xfffe
	s_mul_hi_u32 s9, s2, s9
	s_wait_alu 0xfffe
	s_mul_i32 s22, s9, s24
	s_add_co_i32 s23, s9, 1
	s_wait_alu 0xfffe
	s_sub_co_i32 s22, s2, s22
	s_wait_alu 0xfffe
	s_sub_co_i32 s25, s22, s24
	s_cmp_ge_u32 s22, s24
	s_cselect_b32 s9, s23, s9
	s_wait_alu 0xfffe
	s_cselect_b32 s22, s25, s22
	s_add_co_i32 s25, s9, 1
	s_wait_alu 0xfffe
	s_cmp_ge_u32 s22, s24
	s_mov_b32 s23, 0
	s_cselect_b32 s22, s25, s9
.LBB0_8:
	v_mul_u32_u24_e32 v1, 0x1556, v0
	s_load_b64 s[6:7], s[6:7], 0x18
	s_mul_u64 s[12:13], s[16:17], s[12:13]
	v_mov_b32_e32 v7, 0
	s_wait_alu 0xfffe
	s_sub_nc_u64 s[2:3], s[2:3], s[12:13]
	v_lshrrev_b32_e32 v87, 16, v1
	s_wait_alu 0xfffe
	s_mul_u64 s[2:3], s[2:3], 12
	s_mul_u64 s[12:13], s[20:21], s[18:19]
	s_wait_alu 0xfffe
	s_mul_u64 s[16:17], s[14:15], s[2:3]
	s_add_nc_u64 s[18:19], s[2:3], 12
	v_mul_lo_u16 v1, v87, 12
	v_cmp_le_u64_e64 s9, s[18:19], s[10:11]
	v_mov_b32_e32 v8, 0
	v_mov_b32_e32 v3, v7
	s_delay_alu instid0(VALU_DEP_4) | instskip(NEXT) | instid1(VALU_DEP_1)
	v_sub_nc_u16 v1, v0, v1
	v_dual_mov_b32 v4, v8 :: v_dual_and_b32 v83, 0xffff, v1
	s_wait_kmcnt 0x0
	s_mul_u64 s[6:7], s[6:7], s[22:23]
	s_delay_alu instid0(VALU_DEP_1)
	v_mad_co_u64_u32 v[68:69], null, s14, v83, 0
	v_add_co_u32 v61, s2, s2, v83
	s_wait_alu 0xf1ff
	v_add_co_ci_u32_e64 v62, null, s3, 0, s2
	s_wait_alu 0xfffe
	s_add_nc_u64 s[2:3], s[12:13], s[16:17]
	s_delay_alu instid0(VALU_DEP_3) | instskip(NEXT) | instid1(VALU_DEP_2)
	v_mov_b32_e32 v1, v69
	v_cmp_gt_u64_e32 vcc_lo, s[10:11], v[61:62]
	s_wait_alu 0xfffe
	s_add_nc_u64 s[6:7], s[6:7], s[2:3]
	s_delay_alu instid0(VALU_DEP_2) | instskip(SKIP_2) | instid1(SALU_CYCLE_1)
	v_mad_co_u64_u32 v[1:2], null, s15, v83, v[1:2]
	v_dual_mov_b32 v1, v7 :: v_dual_mov_b32 v2, v8
	s_or_b32 s7, s9, vcc_lo
	s_and_saveexec_b32 s3, s7
	s_cbranch_execz .LBB0_10
; %bb.9:
	v_mul_lo_u32 v1, s8, v87
	v_mov_b32_e32 v2, 0
	s_delay_alu instid0(VALU_DEP_2) | instskip(NEXT) | instid1(VALU_DEP_1)
	v_add3_u32 v1, s6, v68, v1
	v_lshlrev_b64_e32 v[1:2], 4, v[1:2]
	s_delay_alu instid0(VALU_DEP_1) | instskip(SKIP_1) | instid1(VALU_DEP_2)
	v_add_co_u32 v1, s2, s4, v1
	s_wait_alu 0xf1ff
	v_add_co_ci_u32_e64 v2, s2, s5, v2, s2
	global_load_b128 v[1:4], v[1:2], off
.LBB0_10:
	s_wait_alu 0xfffe
	s_or_b32 exec_lo, exec_lo, s3
	v_dual_mov_b32 v5, v7 :: v_dual_mov_b32 v6, v8
	s_and_saveexec_b32 s3, s7
	s_cbranch_execz .LBB0_12
; %bb.11:
	v_dual_mov_b32 v6, 0 :: v_dual_add_nc_u32 v5, 24, v87
	s_delay_alu instid0(VALU_DEP_1) | instskip(NEXT) | instid1(VALU_DEP_1)
	v_mul_lo_u32 v5, s8, v5
	v_add3_u32 v5, s6, v68, v5
	s_delay_alu instid0(VALU_DEP_1) | instskip(NEXT) | instid1(VALU_DEP_1)
	v_lshlrev_b64_e32 v[5:6], 4, v[5:6]
	v_add_co_u32 v5, s2, s4, v5
	s_wait_alu 0xf1ff
	s_delay_alu instid0(VALU_DEP_2)
	v_add_co_ci_u32_e64 v6, s2, s5, v6, s2
	global_load_b128 v[5:8], v[5:6], off
.LBB0_12:
	s_wait_alu 0xfffe
	s_or_b32 exec_lo, exec_lo, s3
	v_mov_b32_e32 v11, 0
	v_mov_b32_e32 v12, 0
	s_delay_alu instid0(VALU_DEP_1)
	v_dual_mov_b32 v16, v12 :: v_dual_mov_b32 v15, v11
	v_dual_mov_b32 v14, v12 :: v_dual_mov_b32 v13, v11
	s_and_saveexec_b32 s3, s7
	s_cbranch_execz .LBB0_14
; %bb.13:
	v_dual_mov_b32 v10, 0 :: v_dual_add_nc_u32 v9, 48, v87
	s_delay_alu instid0(VALU_DEP_1) | instskip(NEXT) | instid1(VALU_DEP_1)
	v_mul_lo_u32 v9, s8, v9
	v_add3_u32 v9, s6, v68, v9
	s_delay_alu instid0(VALU_DEP_1) | instskip(NEXT) | instid1(VALU_DEP_1)
	v_lshlrev_b64_e32 v[9:10], 4, v[9:10]
	v_add_co_u32 v9, s2, s4, v9
	s_wait_alu 0xf1ff
	s_delay_alu instid0(VALU_DEP_2)
	v_add_co_ci_u32_e64 v10, s2, s5, v10, s2
	global_load_b128 v[13:16], v[9:10], off
.LBB0_14:
	s_wait_alu 0xfffe
	s_or_b32 exec_lo, exec_lo, s3
	v_dual_mov_b32 v9, v11 :: v_dual_mov_b32 v10, v12
	s_and_saveexec_b32 s3, s7
	s_cbranch_execz .LBB0_16
; %bb.15:
	v_dual_mov_b32 v10, 0 :: v_dual_add_nc_u32 v9, 0x48, v87
	s_delay_alu instid0(VALU_DEP_1) | instskip(NEXT) | instid1(VALU_DEP_1)
	v_mul_lo_u32 v9, s8, v9
	v_add3_u32 v9, s6, v68, v9
	s_delay_alu instid0(VALU_DEP_1) | instskip(NEXT) | instid1(VALU_DEP_1)
	v_lshlrev_b64_e32 v[9:10], 4, v[9:10]
	v_add_co_u32 v9, s2, s4, v9
	s_wait_alu 0xf1ff
	s_delay_alu instid0(VALU_DEP_2)
	v_add_co_ci_u32_e64 v10, s2, s5, v10, s2
	global_load_b128 v[9:12], v[9:10], off
.LBB0_16:
	s_wait_alu 0xfffe
	s_or_b32 exec_lo, exec_lo, s3
	v_mov_b32_e32 v23, 0
	v_mov_b32_e32 v24, 0
	s_delay_alu instid0(VALU_DEP_2) | instskip(NEXT) | instid1(VALU_DEP_2)
	v_mov_b32_e32 v19, v23
	v_dual_mov_b32 v17, v23 :: v_dual_mov_b32 v18, v24
	v_mov_b32_e32 v20, v24
	s_and_saveexec_b32 s3, s7
	s_cbranch_execz .LBB0_18
; %bb.17:
	v_or_b32_e32 v17, 0x60, v87
	v_mov_b32_e32 v18, 0
	s_delay_alu instid0(VALU_DEP_2) | instskip(NEXT) | instid1(VALU_DEP_1)
	v_mul_lo_u32 v17, s8, v17
	v_add3_u32 v17, s6, v68, v17
	s_delay_alu instid0(VALU_DEP_1) | instskip(NEXT) | instid1(VALU_DEP_1)
	v_lshlrev_b64_e32 v[17:18], 4, v[17:18]
	v_add_co_u32 v17, s2, s4, v17
	s_wait_alu 0xf1ff
	s_delay_alu instid0(VALU_DEP_2)
	v_add_co_ci_u32_e64 v18, s2, s5, v18, s2
	global_load_b128 v[17:20], v[17:18], off
.LBB0_18:
	s_wait_alu 0xfffe
	s_or_b32 exec_lo, exec_lo, s3
	v_dual_mov_b32 v21, v23 :: v_dual_mov_b32 v22, v24
	s_and_saveexec_b32 s3, s7
	s_cbranch_execz .LBB0_20
; %bb.19:
	v_dual_mov_b32 v22, 0 :: v_dual_add_nc_u32 v21, 0x78, v87
	s_delay_alu instid0(VALU_DEP_1) | instskip(NEXT) | instid1(VALU_DEP_1)
	v_mul_lo_u32 v21, s8, v21
	v_add3_u32 v21, s6, v68, v21
	s_delay_alu instid0(VALU_DEP_1) | instskip(NEXT) | instid1(VALU_DEP_1)
	v_lshlrev_b64_e32 v[21:22], 4, v[21:22]
	v_add_co_u32 v21, s2, s4, v21
	s_wait_alu 0xf1ff
	s_delay_alu instid0(VALU_DEP_2)
	v_add_co_ci_u32_e64 v22, s2, s5, v22, s2
	global_load_b128 v[21:24], v[21:22], off
.LBB0_20:
	s_wait_alu 0xfffe
	s_or_b32 exec_lo, exec_lo, s3
	v_mov_b32_e32 v27, 0
	v_mov_b32_e32 v28, 0
	s_delay_alu instid0(VALU_DEP_1)
	v_dual_mov_b32 v32, v28 :: v_dual_mov_b32 v31, v27
	v_dual_mov_b32 v30, v28 :: v_dual_mov_b32 v29, v27
	s_and_saveexec_b32 s3, s7
	s_cbranch_execz .LBB0_22
; %bb.21:
	v_dual_mov_b32 v26, 0 :: v_dual_add_nc_u32 v25, 0x90, v87
	s_delay_alu instid0(VALU_DEP_1) | instskip(NEXT) | instid1(VALU_DEP_1)
	v_mul_lo_u32 v25, s8, v25
	v_add3_u32 v25, s6, v68, v25
	s_delay_alu instid0(VALU_DEP_1) | instskip(NEXT) | instid1(VALU_DEP_1)
	v_lshlrev_b64_e32 v[25:26], 4, v[25:26]
	v_add_co_u32 v25, s2, s4, v25
	s_wait_alu 0xf1ff
	s_delay_alu instid0(VALU_DEP_2)
	v_add_co_ci_u32_e64 v26, s2, s5, v26, s2
	global_load_b128 v[29:32], v[25:26], off
.LBB0_22:
	s_wait_alu 0xfffe
	s_or_b32 exec_lo, exec_lo, s3
	v_cmp_gt_u32_e64 s3, 36, v0
	v_cmp_lt_u32_e64 s2, 35, v0
	v_cndmask_b32_e64 v85, 0, 1, vcc_lo
	v_add_nc_u32_e32 v86, 21, v87
	s_wait_alu 0xf1ff
	v_cndmask_b32_e64 v25, 0, 1, s3
	s_or_b32 vcc_lo, s2, s9
	s_wait_alu 0xfffe
	s_delay_alu instid0(VALU_DEP_1) | instskip(NEXT) | instid1(VALU_DEP_1)
	v_cndmask_b32_e32 v25, v85, v25, vcc_lo
	v_and_b32_e32 v25, 1, v25
	s_delay_alu instid0(VALU_DEP_1)
	v_cmp_eq_u32_e32 vcc_lo, 1, v25
	v_dual_mov_b32 v25, v27 :: v_dual_mov_b32 v26, v28
	s_and_saveexec_b32 s3, vcc_lo
	s_cbranch_execz .LBB0_24
; %bb.23:
	v_mul_lo_u32 v25, s8, v86
	v_mov_b32_e32 v26, 0
	s_delay_alu instid0(VALU_DEP_2) | instskip(NEXT) | instid1(VALU_DEP_1)
	v_add3_u32 v25, s6, v68, v25
	v_lshlrev_b64_e32 v[25:26], 4, v[25:26]
	s_delay_alu instid0(VALU_DEP_1) | instskip(SKIP_1) | instid1(VALU_DEP_2)
	v_add_co_u32 v25, s2, s4, v25
	s_wait_alu 0xf1ff
	v_add_co_ci_u32_e64 v26, s2, s5, v26, s2
	global_load_b128 v[25:28], v[25:26], off
.LBB0_24:
	s_wait_alu 0xfffe
	s_or_b32 exec_lo, exec_lo, s3
	v_mov_b32_e32 v35, 0
	v_mov_b32_e32 v36, 0
	s_delay_alu instid0(VALU_DEP_1)
	v_dual_mov_b32 v40, v36 :: v_dual_mov_b32 v39, v35
	v_dual_mov_b32 v38, v36 :: v_dual_mov_b32 v37, v35
	s_and_saveexec_b32 s3, vcc_lo
	s_cbranch_execz .LBB0_26
; %bb.25:
	v_dual_mov_b32 v34, 0 :: v_dual_add_nc_u32 v33, 45, v87
	s_delay_alu instid0(VALU_DEP_1) | instskip(NEXT) | instid1(VALU_DEP_1)
	v_mul_lo_u32 v33, s8, v33
	v_add3_u32 v33, s6, v68, v33
	s_delay_alu instid0(VALU_DEP_1) | instskip(NEXT) | instid1(VALU_DEP_1)
	v_lshlrev_b64_e32 v[33:34], 4, v[33:34]
	v_add_co_u32 v33, s2, s4, v33
	s_wait_alu 0xf1ff
	s_delay_alu instid0(VALU_DEP_2)
	v_add_co_ci_u32_e64 v34, s2, s5, v34, s2
	global_load_b128 v[37:40], v[33:34], off
.LBB0_26:
	s_wait_alu 0xfffe
	s_or_b32 exec_lo, exec_lo, s3
	v_dual_mov_b32 v33, v35 :: v_dual_mov_b32 v34, v36
	s_and_saveexec_b32 s3, vcc_lo
	s_cbranch_execz .LBB0_28
; %bb.27:
	v_dual_mov_b32 v34, 0 :: v_dual_add_nc_u32 v33, 0x45, v87
	s_delay_alu instid0(VALU_DEP_1) | instskip(NEXT) | instid1(VALU_DEP_1)
	v_mul_lo_u32 v33, s8, v33
	v_add3_u32 v33, s6, v68, v33
	s_delay_alu instid0(VALU_DEP_1) | instskip(NEXT) | instid1(VALU_DEP_1)
	v_lshlrev_b64_e32 v[33:34], 4, v[33:34]
	v_add_co_u32 v33, s2, s4, v33
	s_wait_alu 0xf1ff
	s_delay_alu instid0(VALU_DEP_2)
	v_add_co_ci_u32_e64 v34, s2, s5, v34, s2
	global_load_b128 v[33:36], v[33:34], off
.LBB0_28:
	s_wait_alu 0xfffe
	s_or_b32 exec_lo, exec_lo, s3
	v_mov_b32_e32 v43, 0
	v_mov_b32_e32 v44, 0
	s_delay_alu instid0(VALU_DEP_1)
	v_dual_mov_b32 v48, v44 :: v_dual_mov_b32 v47, v43
	v_dual_mov_b32 v46, v44 :: v_dual_mov_b32 v45, v43
	s_and_saveexec_b32 s3, vcc_lo
	s_cbranch_execz .LBB0_30
; %bb.29:
	v_dual_mov_b32 v42, 0 :: v_dual_add_nc_u32 v41, 0x5d, v87
	s_delay_alu instid0(VALU_DEP_1) | instskip(NEXT) | instid1(VALU_DEP_1)
	v_mul_lo_u32 v41, s8, v41
	v_add3_u32 v41, s6, v68, v41
	s_delay_alu instid0(VALU_DEP_1) | instskip(NEXT) | instid1(VALU_DEP_1)
	v_lshlrev_b64_e32 v[41:42], 4, v[41:42]
	v_add_co_u32 v41, s2, s4, v41
	s_wait_alu 0xf1ff
	s_delay_alu instid0(VALU_DEP_2)
	v_add_co_ci_u32_e64 v42, s2, s5, v42, s2
	global_load_b128 v[45:48], v[41:42], off
.LBB0_30:
	s_wait_alu 0xfffe
	s_or_b32 exec_lo, exec_lo, s3
	v_dual_mov_b32 v41, v43 :: v_dual_mov_b32 v42, v44
	s_and_saveexec_b32 s3, vcc_lo
	s_cbranch_execz .LBB0_32
; %bb.31:
	v_dual_mov_b32 v42, 0 :: v_dual_add_nc_u32 v41, 0x75, v87
	s_delay_alu instid0(VALU_DEP_1) | instskip(NEXT) | instid1(VALU_DEP_1)
	v_mul_lo_u32 v41, s8, v41
	v_add3_u32 v41, s6, v68, v41
	s_delay_alu instid0(VALU_DEP_1) | instskip(NEXT) | instid1(VALU_DEP_1)
	v_lshlrev_b64_e32 v[41:42], 4, v[41:42]
	v_add_co_u32 v41, s2, s4, v41
	s_wait_alu 0xf1ff
	s_delay_alu instid0(VALU_DEP_2)
	v_add_co_ci_u32_e64 v42, s2, s5, v42, s2
	global_load_b128 v[41:44], v[41:42], off
.LBB0_32:
	s_wait_alu 0xfffe
	s_or_b32 exec_lo, exec_lo, s3
	v_mov_b32_e32 v55, 0
	v_mov_b32_e32 v56, 0
	s_delay_alu instid0(VALU_DEP_2) | instskip(NEXT) | instid1(VALU_DEP_2)
	v_mov_b32_e32 v51, v55
	v_dual_mov_b32 v49, v55 :: v_dual_mov_b32 v50, v56
	v_mov_b32_e32 v52, v56
	s_and_saveexec_b32 s3, vcc_lo
	s_cbranch_execz .LBB0_34
; %bb.33:
	v_dual_mov_b32 v50, 0 :: v_dual_add_nc_u32 v49, 0x8d, v87
	s_delay_alu instid0(VALU_DEP_1) | instskip(NEXT) | instid1(VALU_DEP_1)
	v_mul_lo_u32 v49, s8, v49
	v_add3_u32 v49, s6, v68, v49
	s_delay_alu instid0(VALU_DEP_1) | instskip(NEXT) | instid1(VALU_DEP_1)
	v_lshlrev_b64_e32 v[49:50], 4, v[49:50]
	v_add_co_u32 v49, s2, s4, v49
	s_wait_alu 0xf1ff
	s_delay_alu instid0(VALU_DEP_2)
	v_add_co_ci_u32_e64 v50, s2, s5, v50, s2
	global_load_b128 v[49:52], v[49:50], off
.LBB0_34:
	s_wait_alu 0xfffe
	s_or_b32 exec_lo, exec_lo, s3
	v_dual_mov_b32 v53, v55 :: v_dual_mov_b32 v54, v56
	s_and_saveexec_b32 s2, vcc_lo
	s_cbranch_execz .LBB0_36
; %bb.35:
	v_dual_mov_b32 v54, 0 :: v_dual_add_nc_u32 v53, 0xa5, v87
	s_delay_alu instid0(VALU_DEP_1) | instskip(NEXT) | instid1(VALU_DEP_1)
	v_mul_lo_u32 v53, s8, v53
	v_add3_u32 v53, s6, v68, v53
	s_delay_alu instid0(VALU_DEP_1) | instskip(NEXT) | instid1(VALU_DEP_1)
	v_lshlrev_b64_e32 v[53:54], 4, v[53:54]
	v_add_co_u32 v53, vcc_lo, s4, v53
	s_wait_alu 0xfffd
	s_delay_alu instid0(VALU_DEP_2)
	v_add_co_ci_u32_e32 v54, vcc_lo, s5, v54, vcc_lo
	global_load_b128 v[53:56], v[53:54], off
.LBB0_36:
	s_wait_alu 0xfffe
	s_or_b32 exec_lo, exec_lo, s2
	s_wait_loadcnt 0x0
	v_add_f64_e32 v[62:63], v[5:6], v[29:30]
	v_add_f64_e32 v[69:70], v[13:14], v[21:22]
	;; [unrolled: 1-line block ×4, first 2 shown]
	v_add_f64_e64 v[71:72], v[15:16], -v[23:24]
	v_add_f64_e32 v[73:74], v[9:10], v[17:18]
	v_add_f64_e64 v[75:76], v[19:20], -v[11:12]
	v_add_f64_e64 v[77:78], v[7:8], -v[31:32]
	;; [unrolled: 1-line block ×3, first 2 shown]
	v_add_f64_e32 v[79:80], v[45:46], v[41:42]
	v_add_f64_e64 v[81:82], v[43:44], -v[47:48]
	s_mov_b32 s18, 0x37e14327
	s_mov_b32 s2, 0xe976ee23
	s_mov_b32 s10, 0x36b3c0b5
	s_mov_b32 s14, 0x429ad128
	s_mov_b32 s16, 0xb247c609
	s_mov_b32 s19, 0x3fe948f6
	s_mov_b32 s3, 0xbfe11646
	s_mov_b32 s11, 0x3fac98ee
	s_mov_b32 s15, 0x3febfeb5
	s_mov_b32 s17, 0x3fd5d0dc
	s_mov_b32 s20, 0xaaaaaaaa
	s_mov_b32 s22, 0x5476071b
	s_mov_b32 s21, 0xbff2aaaa
	s_mov_b32 s23, 0x3fe77f67
	s_mov_b32 s25, 0xbfe77f67
	s_mov_b32 s27, 0xbfd5d0dc
	s_wait_alu 0xfffe
	s_mov_b32 s24, s22
	s_mov_b32 s26, s16
	;; [unrolled: 1-line block ×4, first 2 shown]
	s_load_b64 s[0:1], s[0:1], 0x0
	v_cmp_gt_u32_e32 vcc_lo, 36, v0
	v_add_f64_e32 v[66:67], v[69:70], v[62:63]
	v_add_f64_e32 v[88:89], v[59:60], v[57:58]
	v_add_f64_e64 v[90:91], v[62:63], -v[73:74]
	v_add_f64_e64 v[92:93], v[75:76], -v[71:72]
	v_add_f64_e64 v[94:95], v[71:72], -v[77:78]
	v_add_f64_e64 v[98:99], v[73:74], -v[69:70]
	v_add_f64_e32 v[102:103], v[75:76], v[71:72]
	v_add_f64_e64 v[100:101], v[64:65], -v[81:82]
	v_add_f64_e64 v[104:105], v[77:78], -v[75:76]
	;; [unrolled: 1-line block ×4, first 2 shown]
	v_add_f64_e32 v[96:97], v[73:74], v[66:67]
	v_add_f64_e64 v[66:67], v[35:36], -v[51:52]
	v_add_f64_e64 v[73:74], v[57:58], -v[79:80]
	v_add_f64_e32 v[88:89], v[79:80], v[88:89]
	v_mul_f64_e32 v[90:91], s[18:19], v[90:91]
	v_mul_f64_e32 v[92:93], s[2:3], v[92:93]
	;; [unrolled: 1-line block ×4, first 2 shown]
	v_add_f64_e32 v[77:78], v[102:103], v[77:78]
	v_mul_f64_e32 v[71:72], s[16:17], v[100:101]
	v_add_f64_e32 v[106:107], v[1:2], v[96:97]
	v_add_f64_e32 v[108:109], v[81:82], v[66:67]
	v_add_f64_e64 v[75:76], v[81:82], -v[66:67]
	v_mul_f64_e32 v[73:74], s[18:19], v[73:74]
	v_add_f64_e32 v[1:2], v[25:26], v[88:89]
	v_fma_f64 v[98:99], v[98:99], s[10:11], v[90:91]
	v_fma_f64 v[100:101], v[104:105], s[16:17], v[92:93]
	v_fma_f64 v[92:93], v[94:95], s[14:15], -v[92:93]
	v_fma_f64 v[79:80], v[104:105], s[26:27], -v[79:80]
	;; [unrolled: 1-line block ×4, first 2 shown]
	v_fma_f64 v[94:95], v[96:97], s[20:21], v[106:107]
	v_add_f64_e32 v[81:82], v[108:109], v[64:65]
	v_fma_f64 v[102:103], v[75:76], s[2:3], v[71:72]
	v_fma_f64 v[96:97], v[69:70], s[10:11], v[73:74]
	;; [unrolled: 1-line block ×6, first 2 shown]
	v_add_f64_e32 v[98:99], v[98:99], v[94:95]
	v_add_f64_e32 v[62:63], v[62:63], v[94:95]
	v_fma_f64 v[77:78], v[81:82], s[12:13], v[102:103]
	v_add_f64_e32 v[90:91], v[90:91], v[94:95]
	v_add_f64_e32 v[79:80], v[96:97], v[25:26]
	;; [unrolled: 1-line block ×3, first 2 shown]
	v_add_f64_e64 v[102:103], v[62:63], -v[92:93]
	v_add_f64_e32 v[92:93], v[92:93], v[62:63]
	v_add_f64_e32 v[96:97], v[100:101], v[90:91]
	;; [unrolled: 1-line block ×3, first 2 shown]
	v_add_f64_e64 v[90:91], v[90:91], -v[100:101]
	v_add_f64_e64 v[98:99], v[98:99], -v[88:89]
	v_mad_u32_u24 v88, 0x2a0, v87, 0
	s_delay_alu instid0(VALU_DEP_1)
	v_lshl_add_u32 v84, v83, 3, v88
	ds_store_2addr_b64 v84, v[106:107], v[94:95] offset1:12
	ds_store_2addr_b64 v84, v[96:97], v[102:103] offset0:24 offset1:36
	ds_store_2addr_b64 v84, v[92:93], v[90:91] offset0:48 offset1:60
	ds_store_b64 v84, v[98:99] offset:576
	s_and_saveexec_b32 s28, vcc_lo
	s_cbranch_execz .LBB0_38
; %bb.37:
	v_add_f64_e64 v[57:58], v[59:60], -v[57:58]
	v_add_f64_e64 v[59:60], v[66:67], -v[64:65]
	v_mul_f64_e32 v[64:65], s[10:11], v[69:70]
	v_mul_f64_e32 v[66:67], s[2:3], v[75:76]
	s_mov_b32 s31, 0xbfebfeb5
	s_mov_b32 s30, s14
	v_mul_f64_e32 v[69:70], s[12:13], v[81:82]
	v_fma_f64 v[73:74], v[57:58], s[24:25], -v[73:74]
	v_fma_f64 v[71:72], v[59:60], s[30:31], -v[71:72]
	;; [unrolled: 1-line block ×4, first 2 shown]
	s_delay_alu instid0(VALU_DEP_4) | instskip(NEXT) | instid1(VALU_DEP_4)
	v_add_f64_e32 v[64:65], v[73:74], v[25:26]
	v_add_f64_e32 v[66:67], v[69:70], v[71:72]
	s_delay_alu instid0(VALU_DEP_4) | instskip(NEXT) | instid1(VALU_DEP_4)
	v_add_f64_e32 v[25:26], v[57:58], v[25:26]
	v_add_f64_e32 v[57:58], v[69:70], v[59:60]
	v_add_nc_u32_e32 v71, 0x3800, v84
	s_delay_alu instid0(VALU_DEP_4) | instskip(SKIP_1) | instid1(VALU_DEP_4)
	v_add_f64_e64 v[59:60], v[64:65], -v[66:67]
	v_add_f64_e32 v[64:65], v[66:67], v[64:65]
	v_add_f64_e64 v[69:70], v[25:26], -v[57:58]
	v_add_f64_e32 v[25:26], v[57:58], v[25:26]
	v_add_f64_e64 v[57:58], v[79:80], -v[77:78]
	v_add_nc_u32_e32 v66, 0x3000, v84
	v_add_nc_u32_e32 v67, 0x3400, v84
	ds_store_2addr_b64 v66, v[1:2], v[62:63] offset0:228 offset1:240
	ds_store_2addr_b64 v67, v[64:65], v[69:70] offset0:124 offset1:136
	;; [unrolled: 1-line block ×3, first 2 shown]
	ds_store_b64 v84, v[57:58] offset:14688
.LBB0_38:
	s_or_b32 exec_lo, exec_lo, s28
	v_add_f64_e32 v[1:2], v[7:8], v[31:32]
	v_add_f64_e32 v[23:24], v[15:16], v[23:24]
	;; [unrolled: 1-line block ×4, first 2 shown]
	v_add_f64_e64 v[21:22], v[13:14], -v[21:22]
	v_add_f64_e32 v[11:12], v[11:12], v[19:20]
	v_add_f64_e64 v[9:10], v[17:18], -v[9:10]
	v_add_f64_e64 v[17:18], v[5:6], -v[29:30]
	;; [unrolled: 1-line block ×3, first 2 shown]
	v_add_f64_e32 v[19:20], v[47:48], v[43:44]
	v_add_f64_e64 v[29:30], v[41:42], -v[45:46]
	v_add_f64_e64 v[25:26], v[33:34], -v[49:50]
	global_wb scope:SCOPE_SE
	s_wait_dscnt 0x0
	s_wait_kmcnt 0x0
	s_barrier_signal -1
	s_barrier_wait -1
	global_inv scope:SCOPE_SE
	v_add_f64_e32 v[5:6], v[23:24], v[1:2]
	v_add_f64_e32 v[31:32], v[15:16], v[7:8]
	v_add_f64_e64 v[35:36], v[1:2], -v[11:12]
	v_add_f64_e64 v[37:38], v[9:10], -v[21:22]
	;; [unrolled: 1-line block ×4, first 2 shown]
	v_add_f64_e32 v[21:22], v[9:10], v[21:22]
	v_add_f64_e64 v[33:34], v[13:14], -v[29:30]
	v_add_f64_e64 v[9:10], v[17:18], -v[9:10]
	;; [unrolled: 1-line block ×3, first 2 shown]
	v_add_f64_e32 v[43:44], v[11:12], v[5:6]
	v_add_f64_e64 v[5:6], v[7:8], -v[19:20]
	v_add_f64_e32 v[45:46], v[19:20], v[31:32]
	v_add_f64_e64 v[11:12], v[11:12], -v[23:24]
	v_mul_f64_e32 v[23:24], s[18:19], v[35:36]
	v_mul_f64_e32 v[35:36], s[2:3], v[37:38]
	v_add_f64_e64 v[37:38], v[19:20], -v[15:16]
	v_mul_f64_e32 v[19:20], s[14:15], v[41:42]
	v_add_f64_e32 v[17:18], v[21:22], v[17:18]
	v_add_f64_e32 v[49:50], v[3:4], v[43:44]
	;; [unrolled: 1-line block ×3, first 2 shown]
	v_mul_f64_e32 v[31:32], s[18:19], v[5:6]
	v_mul_f64_e32 v[29:30], s[16:17], v[33:34]
	v_add_f64_e32 v[5:6], v[27:28], v[45:46]
	v_mul_f64_e32 v[47:48], s[10:11], v[11:12]
	v_fma_f64 v[11:12], v[11:12], s[10:11], v[23:24]
	v_fma_f64 v[21:22], v[9:10], s[16:17], v[35:36]
	v_fma_f64 v[33:34], v[41:42], s[14:15], -v[35:36]
	v_fma_f64 v[9:10], v[9:10], s[26:27], -v[19:20]
	;; [unrolled: 1-line block ×3, first 2 shown]
	v_fma_f64 v[19:20], v[43:44], s[20:21], v[49:50]
	v_add_f64_e32 v[41:42], v[3:4], v[13:14]
	v_fma_f64 v[3:4], v[37:38], s[10:11], v[31:32]
	v_fma_f64 v[35:36], v[39:40], s[2:3], v[29:30]
	;; [unrolled: 1-line block ×3, first 2 shown]
	v_fma_f64 v[1:2], v[1:2], s[22:23], -v[47:48]
	v_lshlrev_b32_e32 v45, 3, v83
	v_fma_f64 v[21:22], v[17:18], s[12:13], v[21:22]
	v_fma_f64 v[43:44], v[17:18], s[12:13], v[33:34]
	;; [unrolled: 1-line block ×3, first 2 shown]
	v_add_f64_e32 v[11:12], v[11:12], v[19:20]
	v_add_f64_e32 v[17:18], v[23:24], v[19:20]
	v_fma_f64 v[33:34], v[41:42], s[12:13], v[35:36]
	v_add_f64_e32 v[35:36], v[3:4], v[27:28]
	v_add_f64_e32 v[1:2], v[1:2], v[19:20]
	v_add_f64_e64 v[51:52], v[11:12], -v[21:22]
	v_add_f64_e64 v[53:54], v[17:18], -v[9:10]
	v_add_f64_e32 v[59:60], v[9:10], v[17:18]
	v_add_f64_e32 v[66:67], v[21:22], v[11:12]
	v_add_f64_e64 v[64:65], v[35:36], -v[33:34]
	v_add_f64_e32 v[55:56], v[43:44], v[1:2]
	v_add_f64_e64 v[57:58], v[1:2], -v[43:44]
	v_mad_i32_i24 v1, 0xfffffdc0, v87, v88
	s_delay_alu instid0(VALU_DEP_1) | instskip(SKIP_1) | instid1(VALU_DEP_2)
	v_add_nc_u32_e32 v48, 0x7e0, v1
	v_add_nc_u32_e32 v43, v1, v45
	;; [unrolled: 1-line block ×3, first 2 shown]
	s_delay_alu instid0(VALU_DEP_2)
	v_add_nc_u32_e32 v46, 0x17a0, v43
	v_add_nc_u32_e32 v47, 0x2760, v43
	ds_load_b64 v[21:22], v43
	ds_load_b64 v[23:24], v43 offset:14112
	ds_load_2addr_b64 v[17:20], v44 offset1:252
	ds_load_2addr_b64 v[1:4], v46 offset1:252
	ds_load_2addr_b64 v[9:12], v47 offset1:252
	global_wb scope:SCOPE_SE
	s_wait_dscnt 0x0
	v_add_nc_u32_e32 v83, 0x7e0, v44
	s_barrier_signal -1
	s_barrier_wait -1
	global_inv scope:SCOPE_SE
	ds_store_2addr_b64 v84, v[49:50], v[51:52] offset1:12
	ds_store_2addr_b64 v84, v[53:54], v[55:56] offset0:24 offset1:36
	ds_store_2addr_b64 v84, v[57:58], v[59:60] offset0:48 offset1:60
	ds_store_b64 v84, v[66:67] offset:576
	s_and_saveexec_b32 s14, vcc_lo
	s_cbranch_execz .LBB0_40
; %bb.39:
	v_mul_f64_e32 v[37:38], s[10:11], v[37:38]
	v_add_f64_e64 v[7:8], v[15:16], -v[7:8]
	v_mul_f64_e32 v[15:16], s[2:3], v[39:40]
	v_add_f64_e64 v[13:14], v[25:26], -v[13:14]
	s_mov_b32 s3, 0x3fe77f67
	s_mov_b32 s2, 0x5476071b
	;; [unrolled: 1-line block ×4, first 2 shown]
	v_mul_f64_e32 v[25:26], s[12:13], v[41:42]
	s_wait_alu 0xfffe
	s_delay_alu instid0(VALU_DEP_4) | instskip(SKIP_1) | instid1(VALU_DEP_3)
	v_fma_f64 v[37:38], v[7:8], s[2:3], -v[37:38]
	s_mov_b32 s3, 0xbfe77f67
	v_fma_f64 v[15:16], v[13:14], s[10:11], -v[15:16]
	s_mov_b32 s11, 0xbfebfeb5
	s_wait_alu 0xfffe
	v_fma_f64 v[7:8], v[7:8], s[2:3], -v[31:32]
	v_fma_f64 v[13:14], v[13:14], s[10:11], -v[29:30]
	s_delay_alu instid0(VALU_DEP_4) | instskip(NEXT) | instid1(VALU_DEP_4)
	v_add_f64_e32 v[29:30], v[37:38], v[27:28]
	v_add_f64_e32 v[15:16], v[25:26], v[15:16]
	s_delay_alu instid0(VALU_DEP_4) | instskip(NEXT) | instid1(VALU_DEP_4)
	v_add_f64_e32 v[7:8], v[7:8], v[27:28]
	v_add_f64_e32 v[13:14], v[25:26], v[13:14]
	s_delay_alu instid0(VALU_DEP_3) | instskip(SKIP_2) | instid1(VALU_DEP_4)
	v_add_f64_e32 v[25:26], v[15:16], v[29:30]
	v_add_f64_e64 v[15:16], v[29:30], -v[15:16]
	v_mul_u32_u24_e32 v29, 0x240, v86
	v_add_f64_e64 v[27:28], v[7:8], -v[13:14]
	v_add_f64_e32 v[7:8], v[13:14], v[7:8]
	v_add_f64_e32 v[13:14], v[33:34], v[35:36]
	s_delay_alu instid0(VALU_DEP_4)
	v_add3_u32 v29, v48, v29, v45
	ds_store_2addr_b64 v29, v[5:6], v[64:65] offset1:12
	ds_store_2addr_b64 v29, v[27:28], v[25:26] offset0:24 offset1:36
	ds_store_2addr_b64 v29, v[15:16], v[7:8] offset0:48 offset1:60
	ds_store_b64 v29, v[13:14] offset:576
.LBB0_40:
	s_wait_alu 0xfffe
	s_or_b32 exec_lo, exec_lo, s14
	v_mul_lo_u16 v5, v87, 37
	global_wb scope:SCOPE_SE
	s_wait_dscnt 0x0
	s_barrier_signal -1
	s_barrier_wait -1
	global_inv scope:SCOPE_SE
	v_lshrrev_b16 v5, 8, v5
	s_mov_b32 s2, 0x667f3bcd
	s_mov_b32 s3, 0x3fe6a09e
	;; [unrolled: 1-line block ×3, first 2 shown]
	s_wait_alu 0xfffe
	s_mov_b32 s10, s2
	v_mul_lo_u16 v5, v5, 7
	v_cmp_gt_u32_e32 vcc_lo, 0xa8, v0
	s_delay_alu instid0(VALU_DEP_2) | instskip(NEXT) | instid1(VALU_DEP_1)
	v_sub_nc_u16 v5, v87, v5
	v_and_b32_e32 v60, 0xff, v5
	s_delay_alu instid0(VALU_DEP_1) | instskip(NEXT) | instid1(VALU_DEP_1)
	v_mul_u32_u24_e32 v5, 7, v60
	v_lshlrev_b32_e32 v13, 4, v5
	s_clause 0x6
	global_load_b128 v[25:28], v13, s[0:1]
	global_load_b128 v[29:32], v13, s[0:1] offset:16
	global_load_b128 v[33:36], v13, s[0:1] offset:32
	global_load_b128 v[5:8], v13, s[0:1] offset:48
	global_load_b128 v[37:40], v13, s[0:1] offset:80
	global_load_b128 v[48:51], v13, s[0:1] offset:64
	global_load_b128 v[52:55], v13, s[0:1] offset:96
	ds_load_b64 v[41:42], v44
	ds_load_b64 v[66:67], v83
	ds_load_2addr_b64 v[13:16], v46 offset1:252
	ds_load_2addr_b64 v[56:59], v47 offset1:252
	ds_load_b64 v[46:47], v43 offset:14112
	s_wait_loadcnt_dscnt 0x604
	v_mul_f64_e32 v[69:70], v[41:42], v[27:28]
	s_wait_loadcnt_dscnt 0x503
	v_mul_f64_e32 v[71:72], v[66:67], v[31:32]
	v_mul_f64_e32 v[31:32], v[19:20], v[31:32]
	s_wait_loadcnt_dscnt 0x402
	v_mul_f64_e32 v[73:74], v[13:14], v[35:36]
	s_wait_loadcnt 0x3
	v_mul_f64_e32 v[75:76], v[15:16], v[7:8]
	s_wait_loadcnt_dscnt 0x201
	v_mul_f64_e32 v[77:78], v[58:59], v[39:40]
	s_wait_loadcnt 0x1
	v_mul_f64_e32 v[79:80], v[56:57], v[50:51]
	s_wait_loadcnt_dscnt 0x0
	v_mul_f64_e32 v[81:82], v[46:47], v[54:55]
	v_mul_f64_e32 v[35:36], v[1:2], v[35:36]
	;; [unrolled: 1-line block ×6, first 2 shown]
	v_fma_f64 v[69:70], v[17:18], v[25:26], -v[69:70]
	v_fma_f64 v[19:20], v[19:20], v[29:30], -v[71:72]
	v_fma_f64 v[17:18], v[66:67], v[29:30], v[31:32]
	v_fma_f64 v[29:30], v[1:2], v[33:34], -v[73:74]
	v_fma_f64 v[1:2], v[3:4], v[5:6], -v[75:76]
	;; [unrolled: 1-line block ×5, first 2 shown]
	v_fma_f64 v[31:32], v[13:14], v[33:34], v[35:36]
	v_fma_f64 v[13:14], v[58:59], v[37:38], v[39:40]
	;; [unrolled: 1-line block ×5, first 2 shown]
	v_add_f64_e64 v[35:36], v[21:22], -v[1:2]
	v_add_f64_e64 v[1:2], v[19:20], -v[11:12]
	;; [unrolled: 1-line block ×7, first 2 shown]
	v_fma_f64 v[21:22], v[21:22], 2.0, -v[35:36]
	v_fma_f64 v[19:20], v[19:20], 2.0, -v[1:2]
	;; [unrolled: 1-line block ×4, first 2 shown]
	v_add_f64_e64 v[39:40], v[35:36], -v[9:10]
	v_add_f64_e64 v[41:42], v[37:38], -v[23:24]
	v_fma_f64 v[23:24], v[31:32], 2.0, -v[23:24]
	v_fma_f64 v[13:14], v[25:26], 2.0, -v[27:28]
	v_add_f64_e32 v[46:47], v[27:28], v[11:12]
	v_add_f64_e64 v[25:26], v[21:22], -v[19:20]
	v_add_f64_e64 v[11:12], v[33:34], -v[29:30]
	v_fma_f64 v[31:32], v[35:36], 2.0, -v[39:40]
	v_fma_f64 v[35:36], v[37:38], 2.0, -v[41:42]
	v_add_f64_e64 v[19:20], v[13:14], -v[23:24]
	v_fma_f64 v[23:24], v[41:42], s[2:3], v[39:40]
	v_fma_f64 v[27:28], v[27:28], 2.0, -v[46:47]
	v_fma_f64 v[21:22], v[21:22], 2.0, -v[25:26]
	v_fma_f64 v[29:30], v[33:34], 2.0, -v[11:12]
	s_wait_alu 0xfffe
	v_fma_f64 v[33:34], v[35:36], s[10:11], v[31:32]
	v_add_f64_e64 v[66:67], v[25:26], -v[19:20]
	v_fma_f64 v[69:70], v[46:47], s[10:11], v[23:24]
	v_and_b32_e32 v23, 0xffff, v0
	s_delay_alu instid0(VALU_DEP_1) | instskip(NEXT) | instid1(VALU_DEP_1)
	v_mul_u32_u24_e32 v23, 0x30d, v23
	v_lshrrev_b32_e32 v23, 16, v23
	v_add_f64_e64 v[37:38], v[21:22], -v[29:30]
	v_mul_f64_e32 v[29:30], s[2:3], v[46:47]
	v_fma_f64 v[48:49], v[27:28], s[10:11], v[33:34]
	v_mul_f64_e32 v[27:28], s[2:3], v[27:28]
	v_fma_f64 v[50:51], v[25:26], 2.0, -v[66:67]
	v_fma_f64 v[39:40], v[39:40], 2.0, -v[69:70]
	ds_load_b64 v[25:26], v43
	global_wb scope:SCOPE_SE
	s_wait_dscnt 0x0
	s_barrier_signal -1
	s_barrier_wait -1
	global_inv scope:SCOPE_SE
	v_fma_f64 v[52:53], v[21:22], 2.0, -v[37:38]
	v_mul_lo_u16 v21, v23, 56
	v_mul_f64_e32 v[23:24], s[2:3], v[41:42]
	v_fma_f64 v[54:55], v[31:32], 2.0, -v[48:49]
	v_add_nc_u32_e32 v31, 0x1500, v43
	v_add_nc_u32_e32 v32, 0x2a00, v43
	v_and_b32_e32 v21, 0xffff, v21
	s_delay_alu instid0(VALU_DEP_1) | instskip(NEXT) | instid1(VALU_DEP_1)
	v_or_b32_e32 v21, v21, v60
	v_mul_u32_u24_e32 v21, 0x60, v21
	s_delay_alu instid0(VALU_DEP_1) | instskip(SKIP_1) | instid1(VALU_DEP_2)
	v_add3_u32 v33, 0, v21, v45
	v_mul_f64_e32 v[21:22], s[2:3], v[35:36]
	v_add_nc_u32_e32 v35, 0xc00, v33
	v_add_nc_u32_e32 v34, 0x800, v33
	ds_store_2addr_b64 v35, v[66:67], v[69:70] offset0:120 offset1:204
	ds_store_2addr_b64 v33, v[50:51], v[39:40] offset0:168 offset1:252
	;; [unrolled: 1-line block ×3, first 2 shown]
	ds_store_2addr_b64 v33, v[52:53], v[54:55] offset1:84
	global_wb scope:SCOPE_SE
	s_wait_dscnt 0x0
	s_barrier_signal -1
	s_barrier_wait -1
	global_inv scope:SCOPE_SE
	ds_load_2addr_b64 v[45:48], v31 offset1:252
	ds_load_2addr_b64 v[49:52], v32 offset1:252
	ds_load_b64 v[75:76], v43
	ds_load_b64 v[77:78], v44
	s_and_saveexec_b32 s2, vcc_lo
	s_cbranch_execz .LBB0_42
; %bb.41:
	ds_load_b64 v[69:70], v43 offset:9408
	ds_load_b64 v[66:67], v83
	ds_load_b64 v[62:63], v43 offset:14784
.LBB0_42:
	s_wait_alu 0xfffe
	s_or_b32 exec_lo, exec_lo, s2
	v_mul_f64_e32 v[3:4], v[3:4], v[7:8]
	global_wb scope:SCOPE_SE
	s_wait_dscnt 0x0
	s_barrier_signal -1
	s_barrier_wait -1
	global_inv scope:SCOPE_SE
	v_fma_f64 v[3:4], v[15:16], v[5:6], v[3:4]
	v_fma_f64 v[5:6], v[17:18], 2.0, -v[9:10]
	v_fma_f64 v[9:10], v[13:14], 2.0, -v[19:20]
	s_delay_alu instid0(VALU_DEP_3) | instskip(NEXT) | instid1(VALU_DEP_1)
	v_add_f64_e64 v[3:4], v[25:26], -v[3:4]
	v_fma_f64 v[7:8], v[25:26], 2.0, -v[3:4]
	v_add_f64_e32 v[1:2], v[3:4], v[1:2]
	s_delay_alu instid0(VALU_DEP_2) | instskip(NEXT) | instid1(VALU_DEP_2)
	v_add_f64_e64 v[5:6], v[7:8], -v[5:6]
	v_fma_f64 v[3:4], v[3:4], 2.0, -v[1:2]
	v_add_f64_e32 v[13:14], v[1:2], v[29:30]
	s_delay_alu instid0(VALU_DEP_3) | instskip(NEXT) | instid1(VALU_DEP_3)
	v_fma_f64 v[7:8], v[7:8], 2.0, -v[5:6]
	v_add_f64_e64 v[15:16], v[3:4], -v[27:28]
	v_add_f64_e32 v[71:72], v[5:6], v[11:12]
	s_delay_alu instid0(VALU_DEP_4) | instskip(NEXT) | instid1(VALU_DEP_4)
	v_add_f64_e32 v[73:74], v[23:24], v[13:14]
	v_add_f64_e64 v[9:10], v[7:8], -v[9:10]
	s_delay_alu instid0(VALU_DEP_4) | instskip(NEXT) | instid1(VALU_DEP_4)
	v_add_f64_e32 v[11:12], v[21:22], v[15:16]
	v_fma_f64 v[5:6], v[5:6], 2.0, -v[71:72]
	s_delay_alu instid0(VALU_DEP_4) | instskip(NEXT) | instid1(VALU_DEP_4)
	v_fma_f64 v[1:2], v[1:2], 2.0, -v[73:74]
	v_fma_f64 v[7:8], v[7:8], 2.0, -v[9:10]
	s_delay_alu instid0(VALU_DEP_4)
	v_fma_f64 v[3:4], v[3:4], 2.0, -v[11:12]
	ds_store_2addr_b64 v35, v[71:72], v[73:74] offset0:120 offset1:204
	ds_store_2addr_b64 v33, v[5:6], v[1:2] offset0:168 offset1:252
	;; [unrolled: 1-line block ×3, first 2 shown]
	ds_store_2addr_b64 v33, v[7:8], v[3:4] offset1:84
	global_wb scope:SCOPE_SE
	s_wait_dscnt 0x0
	s_barrier_signal -1
	s_barrier_wait -1
	global_inv scope:SCOPE_SE
	ds_load_2addr_b64 v[53:56], v31 offset1:252
	ds_load_2addr_b64 v[57:60], v32 offset1:252
	ds_load_b64 v[81:82], v43
	ds_load_b64 v[79:80], v44
	s_and_saveexec_b32 s2, vcc_lo
	s_cbranch_execz .LBB0_44
; %bb.43:
	ds_load_b64 v[73:74], v43 offset:9408
	ds_load_b64 v[71:72], v83
	ds_load_b64 v[64:65], v43 offset:14784
.LBB0_44:
	s_wait_alu 0xfffe
	s_or_b32 exec_lo, exec_lo, s2
	v_add_nc_u32_e32 v88, 42, v87
	s_add_co_i32 s3, 0, 0x3f00
	v_add_nc_u32_e32 v68, s6, v68
	s_delay_alu instid0(VALU_DEP_2) | instskip(NEXT) | instid1(VALU_DEP_1)
	v_mul_lo_u16 v1, 0x93, v88
	v_lshrrev_b16 v89, 13, v1
	s_delay_alu instid0(VALU_DEP_1) | instskip(NEXT) | instid1(VALU_DEP_1)
	v_mul_lo_u16 v1, v89, 56
	v_sub_nc_u16 v1, v88, v1
	s_delay_alu instid0(VALU_DEP_1) | instskip(NEXT) | instid1(VALU_DEP_1)
	v_and_b32_e32 v1, 0xff, v1
	v_lshlrev_b32_e32 v2, 5, v1
	v_mul_lo_u32 v1, v1, v61
	s_clause 0x1
	global_load_b128 v[5:8], v2, s[0:1] offset:800
	global_load_b128 v[9:12], v2, s[0:1] offset:784
	v_mul_lo_u32 v2, v61, 56
	v_lshrrev_b32_e32 v3, 2, v1
	v_and_b32_e32 v4, 63, v1
	v_lshrrev_b32_e32 v13, 8, v1
	s_delay_alu instid0(VALU_DEP_4) | instskip(NEXT) | instid1(VALU_DEP_4)
	v_add_nc_u32_e32 v1, v1, v2
	v_and_b32_e32 v3, 0x3f0, v3
	s_delay_alu instid0(VALU_DEP_4) | instskip(NEXT) | instid1(VALU_DEP_4)
	v_lshl_add_u32 v4, v4, 4, 0
	v_and_b32_e32 v13, 0x3f0, v13
	s_delay_alu instid0(VALU_DEP_4)
	v_and_b32_e32 v14, 63, v1
	s_wait_alu 0xfffe
	v_add_nc_u32_e32 v3, s3, v3
	v_lshrrev_b32_e32 v15, 2, v1
	ds_load_b128 v[17:20], v4 offset:16128
	ds_load_b128 v[21:24], v3 offset:1024
	v_add_nc_u32_e32 v3, s3, v13
	v_lshl_add_u32 v13, v14, 4, 0
	v_add_nc_u32_e32 v14, v1, v2
	v_lshrrev_b32_e32 v16, 8, v1
	ds_load_b128 v[1:4], v3 offset:2048
	ds_load_b128 v[29:32], v13 offset:16128
	v_and_b32_e32 v15, 0x3f0, v15
	v_lshrrev_b32_e32 v13, 2, v14
	v_lshrrev_b32_e32 v25, 8, v14
	v_and_b32_e32 v16, 0x3f0, v16
	v_and_b32_e32 v14, 63, v14
	v_add_nc_u32_e32 v15, s3, v15
	v_and_b32_e32 v13, 0x3f0, v13
	v_and_b32_e32 v25, 0x3f0, v25
	v_add_nc_u32_e32 v16, s3, v16
	v_lshl_add_u32 v26, v14, 4, 0
	s_delay_alu instid0(VALU_DEP_4) | instskip(NEXT) | instid1(VALU_DEP_4)
	v_add_nc_u32_e32 v27, s3, v13
	v_add_nc_u32_e32 v25, s3, v25
	ds_load_b128 v[33:36], v15 offset:1024
	ds_load_b128 v[13:16], v16 offset:2048
	;; [unrolled: 1-line block ×5, first 2 shown]
	s_and_saveexec_b32 s2, s7
	s_cbranch_execz .LBB0_46
; %bb.45:
	v_subrev_nc_u32_e32 v83, 35, v87
	v_cmp_gt_u32_e32 vcc_lo, 0x1a4, v0
	v_subrev_nc_u32_e32 v90, 56, v87
	v_mul_lo_u32 v109, 0xffffffc8, v61
	s_mov_b32 s7, 0xbfebb67a
	s_wait_alu 0xfffd
	v_cndmask_b32_e32 v106, v83, v86, vcc_lo
	v_cmp_gt_u32_e32 vcc_lo, 0x2a0, v0
	s_wait_alu 0xfffd
	v_dual_cndmask_b32 v87, v90, v87 :: v_dual_mov_b32 v84, 0
	s_delay_alu instid0(VALU_DEP_3) | instskip(NEXT) | instid1(VALU_DEP_2)
	v_lshlrev_b32_e32 v83, 1, v106
	v_add_nc_u32_e32 v108, 0x70, v87
	v_mul_lo_u32 v107, v87, v61
	s_delay_alu instid0(VALU_DEP_3) | instskip(SKIP_1) | instid1(VALU_DEP_1)
	v_lshlrev_b64_e32 v[90:91], 4, v[83:84]
	v_lshlrev_b32_e32 v83, 1, v87
	v_lshlrev_b64_e32 v[92:93], 4, v[83:84]
	s_delay_alu instid0(VALU_DEP_3) | instskip(SKIP_1) | instid1(VALU_DEP_4)
	v_add_co_u32 v94, vcc_lo, s0, v90
	s_wait_alu 0xfffd
	v_add_co_ci_u32_e32 v95, vcc_lo, s1, v91, vcc_lo
	v_mul_lo_u32 v83, v106, v61
	s_delay_alu instid0(VALU_DEP_4)
	v_add_co_u32 v102, vcc_lo, s0, v92
	s_wait_alu 0xfffd
	v_add_co_ci_u32_e32 v103, vcc_lo, s1, v93, vcc_lo
	s_clause 0x3
	global_load_b128 v[90:93], v[94:95], off offset:784
	global_load_b128 v[94:97], v[94:95], off offset:800
	;; [unrolled: 1-line block ×4, first 2 shown]
	v_add_nc_u32_e32 v106, 0x70, v106
	v_lshrrev_b32_e32 v111, 2, v107
	v_and_b32_e32 v110, 63, v83
	v_and_b32_e32 v112, 63, v107
	v_lshrrev_b32_e32 v107, 8, v107
	v_mul_lo_u32 v106, v106, v61
	v_mul_lo_u32 v61, v108, v61
	v_lshrrev_b32_e32 v108, 2, v83
	v_and_b32_e32 v111, 0x3f0, v111
	v_lshl_add_u32 v110, v110, 4, 0
	v_lshl_add_u32 v112, v112, 4, 0
	v_and_b32_e32 v154, 0x3f0, v107
	v_and_b32_e32 v108, 0x3f0, v108
	v_add_nc_u32_e32 v116, v106, v109
	v_add_nc_u32_e32 v119, v61, v109
	v_lshrrev_b32_e32 v114, 2, v106
	v_lshrrev_b32_e32 v118, 2, v61
	v_and_b32_e32 v115, 63, v106
	v_lshrrev_b32_e32 v130, 2, v116
	v_lshrrev_b32_e32 v132, 2, v119
	v_and_b32_e32 v117, 63, v61
	v_and_b32_e32 v123, 0x3f0, v114
	v_and_b32_e32 v126, 0x3f0, v118
	v_and_b32_e32 v131, 63, v116
	v_and_b32_e32 v136, 0x3f0, v130
	v_and_b32_e32 v133, 63, v119
	v_lshrrev_b32_e32 v120, 8, v106
	v_add_nc_u32_e32 v121, s3, v108
	v_and_b32_e32 v137, 0x3f0, v132
	v_add_nc_u32_e32 v122, s3, v111
	v_lshl_add_u32 v124, v115, 4, 0
	v_lshl_add_u32 v127, v117, 4, 0
	v_add_nc_u32_e32 v134, s3, v123
	v_add_nc_u32_e32 v135, s3, v126
	v_lshl_add_u32 v138, v131, 4, 0
	v_add_nc_u32_e32 v142, s3, v136
	v_lshl_add_u32 v146, v133, 4, 0
	ds_load_b128 v[106:109], v110 offset:16128
	ds_load_b128 v[110:113], v112 offset:16128
	v_lshrrev_b32_e32 v155, 8, v116
	v_lshrrev_b32_e32 v156, 8, v119
	v_and_b32_e32 v158, 0x3f0, v120
	ds_load_b128 v[114:117], v121 offset:1024
	ds_load_b128 v[118:121], v122 offset:1024
	v_add_nc_u32_e32 v150, s3, v137
	ds_load_b128 v[122:125], v124 offset:16128
	ds_load_b128 v[126:129], v127 offset:16128
	;; [unrolled: 1-line block ×8, first 2 shown]
	v_lshrrev_b32_e32 v83, 8, v83
	v_lshrrev_b32_e32 v61, 8, v61
	v_and_b32_e32 v160, 0x3f0, v155
	v_and_b32_e32 v161, 0x3f0, v156
	v_add_nc_u32_e32 v159, s3, v154
	v_and_b32_e32 v83, 0x3f0, v83
	v_and_b32_e32 v61, 0x3f0, v61
	v_add_nc_u32_e32 v170, s3, v160
	v_add_nc_u32_e32 v174, s3, v161
	s_mov_b32 s0, 0xe8584caa
	v_add_nc_u32_e32 v83, s3, v83
	v_add_nc_u32_e32 v61, s3, v61
	s_mov_b32 s1, 0x3febb67a
	s_wait_dscnt 0x9
	v_mul_f64_e32 v[186:187], v[108:109], v[116:117]
	s_wait_dscnt 0x8
	v_mul_f64_e32 v[188:189], v[112:113], v[120:121]
	ds_load_b128 v[154:157], v83 offset:2048
	v_add_nc_u32_e32 v83, s3, v158
	s_wait_dscnt 0x5
	v_mul_f64_e32 v[192:193], v[128:129], v[136:137]
	v_mul_f64_e32 v[190:191], v[124:125], v[132:133]
	s_wait_dscnt 0x3
	v_mul_f64_e32 v[194:195], v[140:141], v[144:145]
	s_wait_dscnt 0x1
	v_mul_f64_e32 v[196:197], v[148:149], v[152:153]
	ds_load_b128 v[158:161], v159 offset:2048
	ds_load_b128 v[162:165], v83 offset:2048
	ds_load_b128 v[166:169], v61 offset:2048
	ds_load_b128 v[170:173], v170 offset:2048
	ds_load_b128 v[174:177], v174 offset:2048
	s_wait_alu 0xfffe
	s_mov_b32 s6, s0
	v_cmp_lt_u32_e32 vcc_lo, 0x1a3, v0
	s_wait_alu 0xfffd
	v_cndmask_b32_e64 v61, 0, 0x70, vcc_lo
	v_cmp_lt_u32_e32 vcc_lo, 0x29f, v0
	s_delay_alu instid0(VALU_DEP_2) | instskip(SKIP_2) | instid1(VALU_DEP_1)
	v_add_nc_u32_e32 v61, v61, v86
	s_wait_alu 0xfffd
	v_cndmask_b32_e64 v83, 0, 0xa8, vcc_lo
	v_add_nc_u32_e32 v83, v83, v87
	s_delay_alu instid0(VALU_DEP_3) | instskip(SKIP_1) | instid1(VALU_DEP_1)
	v_mad_co_u64_u32 v[86:87], null, s8, v61, v[68:69]
	v_mov_b32_e32 v87, v84
	v_lshlrev_b64_e32 v[86:87], 4, v[86:87]
	s_delay_alu instid0(VALU_DEP_1) | instskip(SKIP_1) | instid1(VALU_DEP_2)
	v_add_co_u32 v86, vcc_lo, s4, v86
	s_wait_alu 0xfffd
	v_add_co_ci_u32_e32 v87, vcc_lo, s5, v87, vcc_lo
	s_wait_loadcnt 0x3
	v_mul_f64_e32 v[178:179], v[55:56], v[92:93]
	s_wait_loadcnt 0x2
	v_mul_f64_e32 v[180:181], v[59:60], v[96:97]
	;; [unrolled: 2-line block ×4, first 2 shown]
	v_mul_f64_e32 v[100:101], v[45:46], v[100:101]
	v_mul_f64_e32 v[104:105], v[49:50], v[104:105]
	;; [unrolled: 1-line block ×4, first 2 shown]
	v_fma_f64 v[47:48], v[47:48], v[90:91], -v[178:179]
	v_fma_f64 v[51:52], v[51:52], v[94:95], -v[180:181]
	;; [unrolled: 1-line block ×4, first 2 shown]
	v_fma_f64 v[53:54], v[53:54], v[98:99], v[100:101]
	v_fma_f64 v[57:58], v[57:58], v[102:103], v[104:105]
	;; [unrolled: 1-line block ×4, first 2 shown]
	v_mul_f64_e32 v[90:91], v[106:107], v[116:117]
	v_mul_f64_e32 v[92:93], v[110:111], v[120:121]
	;; [unrolled: 1-line block ×5, first 2 shown]
	v_fma_f64 v[102:103], v[106:107], v[114:115], -v[186:187]
	v_fma_f64 v[104:105], v[110:111], v[118:119], -v[188:189]
	v_mul_f64_e32 v[100:101], v[146:147], v[152:153]
	v_fma_f64 v[106:107], v[122:123], v[130:131], -v[190:191]
	v_fma_f64 v[110:111], v[126:127], v[134:135], -v[192:193]
	;; [unrolled: 1-line block ×4, first 2 shown]
	v_add_f64_e32 v[122:123], v[47:48], v[51:52]
	v_add_f64_e32 v[138:139], v[75:76], v[45:46]
	;; [unrolled: 1-line block ×3, first 2 shown]
	v_add_f64_e64 v[45:46], v[45:46], -v[49:50]
	v_add_f64_e32 v[132:133], v[53:54], v[57:58]
	v_add_f64_e32 v[136:137], v[55:56], v[59:60]
	v_fma_f64 v[90:91], v[108:109], v[114:115], v[90:91]
	v_fma_f64 v[92:93], v[118:119], v[112:113], v[92:93]
	;; [unrolled: 1-line block ×5, first 2 shown]
	s_wait_dscnt 0x5
	v_mul_f64_e32 v[108:109], v[102:103], v[156:157]
	s_wait_dscnt 0x4
	v_mul_f64_e32 v[112:113], v[160:161], v[104:105]
	v_add_f64_e32 v[130:131], v[79:80], v[55:56]
	v_add_f64_e32 v[134:135], v[77:78], v[47:48]
	v_add_f64_e32 v[140:141], v[81:82], v[53:54]
	v_fma_f64 v[100:101], v[148:149], v[150:151], v[100:101]
	s_wait_dscnt 0x3
	v_mul_f64_e32 v[114:115], v[106:107], v[164:165]
	s_wait_dscnt 0x1
	v_mul_f64_e32 v[124:125], v[116:117], v[172:173]
	;; [unrolled: 2-line block ×3, first 2 shown]
	v_add_f64_e64 v[55:56], v[55:56], -v[59:60]
	v_add_f64_e64 v[53:54], v[53:54], -v[57:58]
	v_mul_f64_e32 v[118:119], v[110:111], v[168:169]
	v_add_f64_e64 v[47:48], v[47:48], -v[51:52]
	v_fma_f64 v[77:78], v[122:123], -0.5, v[77:78]
	v_add_f64_e32 v[49:50], v[138:139], v[49:50]
	v_fma_f64 v[75:76], v[126:127], -0.5, v[75:76]
	v_fma_f64 v[81:82], v[132:133], -0.5, v[81:82]
	;; [unrolled: 1-line block ×3, first 2 shown]
	v_mul_f64_e32 v[122:123], v[90:91], v[156:157]
	v_mul_f64_e32 v[126:127], v[160:161], v[92:93]
	;; [unrolled: 1-line block ×5, first 2 shown]
	v_fma_f64 v[90:91], v[154:155], v[90:91], v[108:109]
	v_fma_f64 v[92:93], v[158:159], v[92:93], v[112:113]
	v_add_f64_e32 v[59:60], v[130:131], v[59:60]
	v_add_f64_e32 v[51:52], v[134:135], v[51:52]
	;; [unrolled: 1-line block ×3, first 2 shown]
	v_mul_f64_e32 v[144:145], v[100:101], v[176:177]
	v_fma_f64 v[94:95], v[162:163], v[94:95], v[114:115]
	v_fma_f64 v[98:99], v[170:171], v[98:99], v[124:125]
	;; [unrolled: 1-line block ×3, first 2 shown]
	v_add_nc_u32_e32 v128, 56, v61
	v_add_nc_u32_e32 v61, 0x70, v61
	v_fma_f64 v[96:97], v[166:167], v[96:97], v[118:119]
	s_delay_alu instid0(VALU_DEP_3) | instskip(SKIP_1) | instid1(VALU_DEP_4)
	v_mad_co_u64_u32 v[128:129], null, s8, v128, v[68:69]
	v_mov_b32_e32 v129, v84
	v_mad_co_u64_u32 v[130:131], null, s8, v61, v[68:69]
	v_mov_b32_e32 v131, v84
	v_fma_f64 v[112:113], v[55:56], s[0:1], v[77:78]
	s_wait_alu 0xfffe
	v_fma_f64 v[108:109], v[55:56], s[6:7], v[77:78]
	v_fma_f64 v[114:115], v[53:54], s[6:7], v[75:76]
	;; [unrolled: 1-line block ×7, first 2 shown]
	v_fma_f64 v[45:46], v[154:155], v[102:103], -v[122:123]
	v_fma_f64 v[79:80], v[158:159], v[104:105], -v[126:127]
	;; [unrolled: 1-line block ×5, first 2 shown]
	v_mul_f64_e32 v[116:117], v[49:50], v[92:93]
	v_mad_co_u64_u32 v[126:127], null, s8, v83, v[68:69]
	v_mul_f64_e32 v[47:48], v[51:52], v[90:91]
	v_mul_f64_e32 v[90:91], v[59:60], v[90:91]
	;; [unrolled: 1-line block ×3, first 2 shown]
	v_fma_f64 v[110:111], v[174:175], v[120:121], -v[144:145]
	v_add_nc_u32_e32 v132, 56, v83
	v_add_nc_u32_e32 v83, 0x70, v83
	v_mov_b32_e32 v127, v84
	s_delay_alu instid0(VALU_DEP_3)
	v_mad_co_u64_u32 v[132:133], null, s8, v132, v[68:69]
	v_mov_b32_e32 v133, v84
	v_mul_f64_e32 v[120:121], v[112:113], v[98:99]
	v_mul_f64_e32 v[118:119], v[108:109], v[94:95]
	v_mul_f64_e32 v[122:123], v[114:115], v[96:97]
	v_mul_f64_e32 v[124:125], v[53:54], v[100:101]
	v_mul_f64_e32 v[100:101], v[75:76], v[100:101]
	v_mul_f64_e32 v[96:97], v[77:78], v[96:97]
	v_mul_f64_e32 v[98:99], v[81:82], v[98:99]
	v_mul_f64_e32 v[94:95], v[55:56], v[94:95]
	v_fma_f64 v[47:48], v[59:60], v[45:46], v[47:48]
	v_fma_f64 v[45:46], v[51:52], v[45:46], -v[90:91]
	v_fma_f64 v[51:52], v[57:58], v[79:80], v[116:117]
	v_fma_f64 v[49:50], v[49:50], v[79:80], -v[92:93]
	v_mad_co_u64_u32 v[90:91], null, s8, v83, v[68:69]
	v_mov_b32_e32 v91, v84
	v_lshlrev_b64_e32 v[83:84], 4, v[126:127]
	v_lshlrev_b64_e32 v[92:93], 4, v[128:129]
	s_delay_alu instid0(VALU_DEP_3) | instskip(NEXT) | instid1(VALU_DEP_3)
	v_lshlrev_b64_e32 v[90:91], 4, v[90:91]
	v_add_co_u32 v83, vcc_lo, s4, v83
	s_wait_alu 0xfffd
	s_delay_alu instid0(VALU_DEP_4) | instskip(NEXT) | instid1(VALU_DEP_4)
	v_add_co_ci_u32_e32 v84, vcc_lo, s5, v84, vcc_lo
	v_add_co_u32 v92, vcc_lo, s4, v92
	s_wait_alu 0xfffd
	v_add_co_ci_u32_e32 v93, vcc_lo, s5, v93, vcc_lo
	v_fma_f64 v[59:60], v[81:82], v[106:107], v[120:121]
	v_fma_f64 v[55:56], v[55:56], v[102:103], v[118:119]
	v_fma_f64 v[77:78], v[77:78], v[104:105], v[122:123]
	v_fma_f64 v[81:82], v[75:76], v[110:111], v[124:125]
	v_fma_f64 v[79:80], v[53:54], v[110:111], -v[100:101]
	v_fma_f64 v[75:76], v[114:115], v[104:105], -v[96:97]
	;; [unrolled: 1-line block ×4, first 2 shown]
	v_lshlrev_b64_e32 v[96:97], 4, v[132:133]
	v_lshlrev_b64_e32 v[94:95], 4, v[130:131]
	s_delay_alu instid0(VALU_DEP_2) | instskip(SKIP_1) | instid1(VALU_DEP_3)
	v_add_co_u32 v96, vcc_lo, s4, v96
	s_wait_alu 0xfffd
	v_add_co_ci_u32_e32 v97, vcc_lo, s5, v97, vcc_lo
	v_add_co_u32 v90, vcc_lo, s4, v90
	s_wait_alu 0xfffd
	v_add_co_ci_u32_e32 v91, vcc_lo, s5, v91, vcc_lo
	;; [unrolled: 3-line block ×3, first 2 shown]
	s_clause 0x5
	global_store_b128 v[83:84], v[49:52], off
	global_store_b128 v[96:97], v[79:82], off
	;; [unrolled: 1-line block ×6, first 2 shown]
.LBB0_46:
	s_wait_alu 0xfffe
	s_or_b32 exec_lo, exec_lo, s2
	v_cmp_gt_u32_e64 s0, 0xa8, v0
	v_cmp_lt_u32_e32 vcc_lo, 0xa7, v0
	s_wait_alu 0xf1ff
	s_delay_alu instid0(VALU_DEP_2) | instskip(SKIP_3) | instid1(VALU_DEP_1)
	v_cndmask_b32_e64 v0, 0, 1, s0
	s_or_b32 vcc_lo, vcc_lo, s9
	s_mov_b32 s0, exec_lo
	s_wait_alu 0xfffe
	v_cndmask_b32_e32 v0, v85, v0, vcc_lo
	s_delay_alu instid0(VALU_DEP_1) | instskip(NEXT) | instid1(VALU_DEP_1)
	v_and_b32_e32 v0, 1, v0
	v_cmpx_eq_u32_e32 1, v0
	s_cbranch_execz .LBB0_48
; %bb.47:
	s_wait_loadcnt_dscnt 0xb
	v_mul_f64_e32 v[45:46], v[73:74], v[11:12]
	v_mul_f64_e32 v[11:12], v[69:70], v[11:12]
	;; [unrolled: 1-line block ×3, first 2 shown]
	s_wait_dscnt 0x9
	v_mul_f64_e32 v[7:8], v[64:65], v[7:8]
	s_wait_dscnt 0x7
	v_mul_f64_e32 v[49:50], v[19:20], v[23:24]
	;; [unrolled: 2-line block ×4, first 2 shown]
	s_mov_b32 s0, 0xe8584caa
	s_mov_b32 s1, 0x3febb67a
	;; [unrolled: 1-line block ×3, first 2 shown]
	s_wait_alu 0xfffe
	s_mov_b32 s2, s0
	v_fma_f64 v[45:46], v[69:70], v[9:10], -v[45:46]
	v_fma_f64 v[9:10], v[73:74], v[9:10], v[11:12]
	v_fma_f64 v[11:12], v[64:65], v[5:6], v[47:48]
	v_fma_f64 v[5:6], v[62:63], v[5:6], -v[7:8]
	v_mul_f64_e32 v[7:8], v[17:18], v[23:24]
	v_mul_f64_e32 v[23:24], v[29:30], v[35:36]
	;; [unrolled: 1-line block ×3, first 2 shown]
	v_fma_f64 v[17:18], v[17:18], v[21:22], -v[49:50]
	v_fma_f64 v[29:30], v[29:30], v[33:34], -v[51:52]
	;; [unrolled: 1-line block ×3, first 2 shown]
	v_add_f64_e32 v[43:44], v[9:10], v[11:12]
	v_add_f64_e32 v[47:48], v[45:46], v[5:6]
	v_fma_f64 v[7:8], v[19:20], v[21:22], v[7:8]
	v_fma_f64 v[19:20], v[31:32], v[33:34], v[23:24]
	;; [unrolled: 1-line block ×3, first 2 shown]
	v_add_f64_e32 v[23:24], v[66:67], v[45:46]
	v_add_f64_e64 v[31:32], v[9:10], -v[11:12]
	v_add_f64_e32 v[9:10], v[71:72], v[9:10]
	v_mul_f64_e32 v[35:36], v[17:18], v[3:4]
	v_add_f64_e64 v[33:34], v[45:46], -v[5:6]
	v_mul_f64_e32 v[39:40], v[29:30], v[15:16]
	s_wait_dscnt 0x0
	v_mul_f64_e32 v[41:42], v[37:38], v[27:28]
	v_fma_f64 v[43:44], v[43:44], -0.5, v[71:72]
	v_fma_f64 v[45:46], v[47:48], -0.5, v[66:67]
	v_mul_f64_e32 v[3:4], v[7:8], v[3:4]
	v_mul_f64_e32 v[15:16], v[19:20], v[15:16]
	v_mul_f64_e32 v[27:28], v[21:22], v[27:28]
	v_add_f64_e32 v[5:6], v[23:24], v[5:6]
	v_add_f64_e32 v[9:10], v[9:10], v[11:12]
	v_fma_f64 v[7:8], v[1:2], v[7:8], v[35:36]
	v_fma_f64 v[11:12], v[13:14], v[19:20], v[39:40]
	;; [unrolled: 1-line block ×3, first 2 shown]
	s_wait_alu 0xfffe
	v_fma_f64 v[21:22], v[33:34], s[2:3], v[43:44]
	v_fma_f64 v[23:24], v[31:32], s[0:1], v[45:46]
	;; [unrolled: 1-line block ×4, first 2 shown]
	v_fma_f64 v[2:3], v[1:2], v[17:18], -v[3:4]
	v_fma_f64 v[13:14], v[13:14], v[29:30], -v[15:16]
	;; [unrolled: 1-line block ×3, first 2 shown]
	v_and_b32_e32 v27, 0xffff, v89
	v_mul_f64_e32 v[0:1], v[9:10], v[7:8]
	v_mul_f64_e32 v[7:8], v[5:6], v[7:8]
	;; [unrolled: 1-line block ×6, first 2 shown]
	v_fma_f64 v[0:1], v[5:6], v[2:3], -v[0:1]
	v_fma_f64 v[2:3], v[9:10], v[2:3], v[7:8]
	v_fma_f64 v[4:5], v[23:24], v[13:14], -v[17:18]
	v_fma_f64 v[6:7], v[21:22], v[13:14], v[11:12]
	;; [unrolled: 2-line block ×3, first 2 shown]
	v_mad_u32_u24 v14, 0x70, v27, v88
	s_delay_alu instid0(VALU_DEP_1) | instskip(SKIP_2) | instid1(VALU_DEP_3)
	v_add_nc_u32_e32 v15, 56, v14
	v_mad_co_u64_u32 v[12:13], null, s8, v14, v[68:69]
	v_dual_mov_b32 v13, 0 :: v_dual_add_nc_u32 v16, 0x70, v14
	v_mad_co_u64_u32 v[14:15], null, s8, v15, v[68:69]
	s_delay_alu instid0(VALU_DEP_2) | instskip(NEXT) | instid1(VALU_DEP_3)
	v_mad_co_u64_u32 v[16:17], null, s8, v16, v[68:69]
	v_mov_b32_e32 v15, v13
	v_mov_b32_e32 v17, v13
	v_lshlrev_b64_e32 v[12:13], 4, v[12:13]
	s_delay_alu instid0(VALU_DEP_3) | instskip(NEXT) | instid1(VALU_DEP_3)
	v_lshlrev_b64_e32 v[14:15], 4, v[14:15]
	v_lshlrev_b64_e32 v[16:17], 4, v[16:17]
	s_delay_alu instid0(VALU_DEP_3) | instskip(SKIP_1) | instid1(VALU_DEP_4)
	v_add_co_u32 v12, vcc_lo, s4, v12
	s_wait_alu 0xfffd
	v_add_co_ci_u32_e32 v13, vcc_lo, s5, v13, vcc_lo
	s_delay_alu instid0(VALU_DEP_4)
	v_add_co_u32 v14, vcc_lo, s4, v14
	s_wait_alu 0xfffd
	v_add_co_ci_u32_e32 v15, vcc_lo, s5, v15, vcc_lo
	v_add_co_u32 v16, vcc_lo, s4, v16
	s_wait_alu 0xfffd
	v_add_co_ci_u32_e32 v17, vcc_lo, s5, v17, vcc_lo
	s_clause 0x2
	global_store_b128 v[12:13], v[0:3], off
	global_store_b128 v[14:15], v[4:7], off
	;; [unrolled: 1-line block ×3, first 2 shown]
.LBB0_48:
	s_nop 0
	s_sendmsg sendmsg(MSG_DEALLOC_VGPRS)
	s_endpgm
	.section	.rodata,"a",@progbits
	.p2align	6, 0x0
	.amdhsa_kernel fft_rtc_fwd_len168_factors_7_8_3_wgs_252_tpt_21_halfLds_dim3_dp_ip_CI_sbcc_twdbase6_3step_dirReg_intrinsicReadWrite
		.amdhsa_group_segment_fixed_size 0
		.amdhsa_private_segment_fixed_size 0
		.amdhsa_kernarg_size 88
		.amdhsa_user_sgpr_count 2
		.amdhsa_user_sgpr_dispatch_ptr 0
		.amdhsa_user_sgpr_queue_ptr 0
		.amdhsa_user_sgpr_kernarg_segment_ptr 1
		.amdhsa_user_sgpr_dispatch_id 0
		.amdhsa_user_sgpr_private_segment_size 0
		.amdhsa_wavefront_size32 1
		.amdhsa_uses_dynamic_stack 0
		.amdhsa_enable_private_segment 0
		.amdhsa_system_sgpr_workgroup_id_x 1
		.amdhsa_system_sgpr_workgroup_id_y 0
		.amdhsa_system_sgpr_workgroup_id_z 0
		.amdhsa_system_sgpr_workgroup_info 0
		.amdhsa_system_vgpr_workitem_id 0
		.amdhsa_next_free_vgpr 198
		.amdhsa_next_free_sgpr 32
		.amdhsa_reserve_vcc 1
		.amdhsa_float_round_mode_32 0
		.amdhsa_float_round_mode_16_64 0
		.amdhsa_float_denorm_mode_32 3
		.amdhsa_float_denorm_mode_16_64 3
		.amdhsa_fp16_overflow 0
		.amdhsa_workgroup_processor_mode 1
		.amdhsa_memory_ordered 1
		.amdhsa_forward_progress 0
		.amdhsa_round_robin_scheduling 0
		.amdhsa_exception_fp_ieee_invalid_op 0
		.amdhsa_exception_fp_denorm_src 0
		.amdhsa_exception_fp_ieee_div_zero 0
		.amdhsa_exception_fp_ieee_overflow 0
		.amdhsa_exception_fp_ieee_underflow 0
		.amdhsa_exception_fp_ieee_inexact 0
		.amdhsa_exception_int_div_zero 0
	.end_amdhsa_kernel
	.text
.Lfunc_end0:
	.size	fft_rtc_fwd_len168_factors_7_8_3_wgs_252_tpt_21_halfLds_dim3_dp_ip_CI_sbcc_twdbase6_3step_dirReg_intrinsicReadWrite, .Lfunc_end0-fft_rtc_fwd_len168_factors_7_8_3_wgs_252_tpt_21_halfLds_dim3_dp_ip_CI_sbcc_twdbase6_3step_dirReg_intrinsicReadWrite
                                        ; -- End function
	.section	.AMDGPU.csdata,"",@progbits
; Kernel info:
; codeLenInByte = 8580
; NumSgprs: 34
; NumVgprs: 198
; ScratchSize: 0
; MemoryBound: 0
; FloatMode: 240
; IeeeMode: 1
; LDSByteSize: 0 bytes/workgroup (compile time only)
; SGPRBlocks: 4
; VGPRBlocks: 24
; NumSGPRsForWavesPerEU: 34
; NumVGPRsForWavesPerEU: 198
; Occupancy: 7
; WaveLimiterHint : 1
; COMPUTE_PGM_RSRC2:SCRATCH_EN: 0
; COMPUTE_PGM_RSRC2:USER_SGPR: 2
; COMPUTE_PGM_RSRC2:TRAP_HANDLER: 0
; COMPUTE_PGM_RSRC2:TGID_X_EN: 1
; COMPUTE_PGM_RSRC2:TGID_Y_EN: 0
; COMPUTE_PGM_RSRC2:TGID_Z_EN: 0
; COMPUTE_PGM_RSRC2:TIDIG_COMP_CNT: 0
	.text
	.p2alignl 7, 3214868480
	.fill 96, 4, 3214868480
	.type	__hip_cuid_469b81b0993cb34a,@object ; @__hip_cuid_469b81b0993cb34a
	.section	.bss,"aw",@nobits
	.globl	__hip_cuid_469b81b0993cb34a
__hip_cuid_469b81b0993cb34a:
	.byte	0                               ; 0x0
	.size	__hip_cuid_469b81b0993cb34a, 1

	.ident	"AMD clang version 19.0.0git (https://github.com/RadeonOpenCompute/llvm-project roc-6.4.0 25133 c7fe45cf4b819c5991fe208aaa96edf142730f1d)"
	.section	".note.GNU-stack","",@progbits
	.addrsig
	.addrsig_sym __hip_cuid_469b81b0993cb34a
	.amdgpu_metadata
---
amdhsa.kernels:
  - .args:
      - .actual_access:  read_only
        .address_space:  global
        .offset:         0
        .size:           8
        .value_kind:     global_buffer
      - .address_space:  global
        .offset:         8
        .size:           8
        .value_kind:     global_buffer
      - .actual_access:  read_only
        .address_space:  global
        .offset:         16
        .size:           8
        .value_kind:     global_buffer
      - .actual_access:  read_only
        .address_space:  global
        .offset:         24
        .size:           8
        .value_kind:     global_buffer
      - .offset:         32
        .size:           8
        .value_kind:     by_value
      - .actual_access:  read_only
        .address_space:  global
        .offset:         40
        .size:           8
        .value_kind:     global_buffer
      - .actual_access:  read_only
        .address_space:  global
        .offset:         48
        .size:           8
        .value_kind:     global_buffer
      - .offset:         56
        .size:           4
        .value_kind:     by_value
      - .actual_access:  read_only
        .address_space:  global
        .offset:         64
        .size:           8
        .value_kind:     global_buffer
      - .actual_access:  read_only
        .address_space:  global
        .offset:         72
        .size:           8
        .value_kind:     global_buffer
      - .address_space:  global
        .offset:         80
        .size:           8
        .value_kind:     global_buffer
    .group_segment_fixed_size: 0
    .kernarg_segment_align: 8
    .kernarg_segment_size: 88
    .language:       OpenCL C
    .language_version:
      - 2
      - 0
    .max_flat_workgroup_size: 252
    .name:           fft_rtc_fwd_len168_factors_7_8_3_wgs_252_tpt_21_halfLds_dim3_dp_ip_CI_sbcc_twdbase6_3step_dirReg_intrinsicReadWrite
    .private_segment_fixed_size: 0
    .sgpr_count:     34
    .sgpr_spill_count: 0
    .symbol:         fft_rtc_fwd_len168_factors_7_8_3_wgs_252_tpt_21_halfLds_dim3_dp_ip_CI_sbcc_twdbase6_3step_dirReg_intrinsicReadWrite.kd
    .uniform_work_group_size: 1
    .uses_dynamic_stack: false
    .vgpr_count:     198
    .vgpr_spill_count: 0
    .wavefront_size: 32
    .workgroup_processor_mode: 1
amdhsa.target:   amdgcn-amd-amdhsa--gfx1201
amdhsa.version:
  - 1
  - 2
...

	.end_amdgpu_metadata
